;; amdgpu-corpus repo=ROCm/rocFFT kind=compiled arch=gfx906 opt=O3
	.text
	.amdgcn_target "amdgcn-amd-amdhsa--gfx906"
	.amdhsa_code_object_version 6
	.protected	bluestein_single_back_len88_dim1_sp_op_CI_CI ; -- Begin function bluestein_single_back_len88_dim1_sp_op_CI_CI
	.globl	bluestein_single_back_len88_dim1_sp_op_CI_CI
	.p2align	8
	.type	bluestein_single_back_len88_dim1_sp_op_CI_CI,@function
bluestein_single_back_len88_dim1_sp_op_CI_CI: ; @bluestein_single_back_len88_dim1_sp_op_CI_CI
; %bb.0:
	v_mul_u32_u24_e32 v1, 0x1746, v0
	s_load_dwordx4 s[0:3], s[4:5], 0x28
	v_lshrrev_b32_e32 v1, 16, v1
	v_mad_u64_u32 v[32:33], s[6:7], s6, 11, v[1:2]
	v_mov_b32_e32 v33, 0
	s_waitcnt lgkmcnt(0)
	v_cmp_gt_u64_e32 vcc, s[0:1], v[32:33]
	s_and_saveexec_b64 s[0:1], vcc
	s_cbranch_execz .LBB0_15
; %bb.1:
	s_mov_b32 s0, 0xba2e8ba3
	v_mul_hi_u32 v2, v32, s0
	s_load_dwordx2 s[6:7], s[4:5], 0x0
	s_load_dwordx2 s[12:13], s[4:5], 0x38
	v_mul_lo_u16_e32 v1, 11, v1
	v_sub_u16_e32 v39, v0, v1
	v_lshrrev_b32_e32 v2, 3, v2
	v_mul_lo_u32 v2, v2, 11
	v_cmp_gt_u16_e32 vcc, 8, v39
	v_lshlrev_b32_e32 v42, 3, v39
	v_or_b32_e32 v47, 8, v39
	v_sub_u32_e32 v0, v32, v2
	v_mul_u32_u24_e32 v26, 0x58, v0
	v_or_b32_e32 v0, v26, v39
	v_lshlrev_b32_e32 v49, 3, v0
	v_or_b32_e32 v48, 16, v39
	v_or_b32_e32 v46, 24, v39
	;; [unrolled: 1-line block ×7, first 2 shown]
	s_and_saveexec_b64 s[14:15], vcc
	s_cbranch_execz .LBB0_3
; %bb.2:
	s_load_dwordx2 s[0:1], s[4:5], 0x18
	v_mov_b32_e32 v8, s3
	s_waitcnt lgkmcnt(0)
	s_load_dwordx4 s[8:11], s[0:1], 0x0
	s_waitcnt lgkmcnt(0)
	v_mad_u64_u32 v[0:1], s[0:1], s10, v32, 0
	v_mad_u64_u32 v[2:3], s[0:1], s8, v39, 0
	;; [unrolled: 1-line block ×5, first 2 shown]
	v_mov_b32_e32 v1, v4
	v_lshlrev_b64 v[0:1], 3, v[0:1]
	v_mov_b32_e32 v3, v5
	v_add_co_u32_e64 v31, s[0:1], s2, v0
	v_mov_b32_e32 v0, v7
	v_addc_co_u32_e64 v62, s[0:1], v8, v1, s[0:1]
	v_mad_u64_u32 v[0:1], s[0:1], s9, v47, v[0:1]
	v_mad_u64_u32 v[4:5], s[0:1], s8, v48, 0
	v_lshlrev_b64 v[2:3], 3, v[2:3]
	v_mov_b32_e32 v7, v0
	v_add_co_u32_e64 v1, s[0:1], v31, v2
	v_mov_b32_e32 v0, v5
	v_addc_co_u32_e64 v2, s[0:1], v62, v3, s[0:1]
	v_mad_u64_u32 v[8:9], s[0:1], s9, v48, v[0:1]
	v_mad_u64_u32 v[9:10], s[0:1], s8, v46, 0
	v_lshlrev_b64 v[6:7], 3, v[6:7]
	v_mov_b32_e32 v5, v8
	v_add_co_u32_e64 v6, s[0:1], v31, v6
	v_mov_b32_e32 v0, v10
	v_addc_co_u32_e64 v7, s[0:1], v62, v7, s[0:1]
	v_mad_u64_u32 v[10:11], s[0:1], s9, v46, v[0:1]
	v_lshlrev_b64 v[3:4], 3, v[4:5]
	v_add_co_u32_e64 v3, s[0:1], v31, v3
	v_lshlrev_b64 v[8:9], 3, v[9:10]
	v_addc_co_u32_e64 v4, s[0:1], v62, v4, s[0:1]
	v_add_co_u32_e64 v8, s[0:1], v31, v8
	v_addc_co_u32_e64 v9, s[0:1], v62, v9, s[0:1]
	global_load_dwordx2 v[12:13], v[1:2], off
	global_load_dwordx2 v[14:15], v[6:7], off
	;; [unrolled: 1-line block ×4, first 2 shown]
	s_nop 0
	global_load_dwordx2 v[3:4], v42, s[6:7]
	global_load_dwordx2 v[5:6], v42, s[6:7] offset:64
	global_load_dwordx2 v[7:8], v42, s[6:7] offset:128
	global_load_dwordx2 v[20:21], v42, s[6:7] offset:192
	v_mad_u64_u32 v[10:11], s[0:1], s8, v45, 0
	v_mov_b32_e32 v0, v11
	v_mad_u64_u32 v[0:1], s[0:1], s9, v45, v[0:1]
	v_mad_u64_u32 v[1:2], s[0:1], s8, v44, 0
	v_mov_b32_e32 v11, v0
	v_lshlrev_b64 v[9:10], 3, v[10:11]
	v_mov_b32_e32 v0, v2
	v_mad_u64_u32 v[22:23], s[0:1], s9, v44, v[0:1]
	v_mad_u64_u32 v[23:24], s[0:1], s8, v43, 0
	v_add_co_u32_e64 v9, s[0:1], v31, v9
	v_mov_b32_e32 v2, v22
	v_addc_co_u32_e64 v10, s[0:1], v62, v10, s[0:1]
	v_lshlrev_b64 v[0:1], 3, v[1:2]
	v_mov_b32_e32 v2, v24
	v_mad_u64_u32 v[27:28], s[0:1], s8, v41, 0
	v_or_b32_e32 v11, 0x48, v39
	s_waitcnt vmcnt(3)
	v_mad_u64_u32 v[24:25], s[0:1], s9, v43, v[2:3]
	v_add_co_u32_e64 v0, s[0:1], v31, v0
	v_mov_b32_e32 v2, v28
	v_addc_co_u32_e64 v1, s[0:1], v62, v1, s[0:1]
	v_lshlrev_b64 v[22:23], 3, v[23:24]
	v_mad_u64_u32 v[24:25], s[0:1], s9, v41, v[2:3]
	v_add_co_u32_e64 v22, s[0:1], v31, v22
	v_mov_b32_e32 v28, v24
	v_lshlrev_b64 v[24:25], 3, v[27:28]
	v_addc_co_u32_e64 v23, s[0:1], v62, v23, s[0:1]
	v_add_co_u32_e64 v24, s[0:1], v31, v24
	v_addc_co_u32_e64 v25, s[0:1], v62, v25, s[0:1]
	v_mad_u64_u32 v[27:28], s[0:1], s8, v40, 0
	global_load_dwordx2 v[29:30], v[9:10], off
	global_load_dwordx2 v[33:34], v[0:1], off
	;; [unrolled: 1-line block ×4, first 2 shown]
	s_nop 0
	global_load_dwordx2 v[9:10], v42, s[6:7] offset:256
	global_load_dwordx2 v[22:23], v42, s[6:7] offset:320
	;; [unrolled: 1-line block ×4, first 2 shown]
	v_mov_b32_e32 v0, v28
	v_mad_u64_u32 v[0:1], s[0:1], s9, v40, v[0:1]
	v_mad_u64_u32 v[1:2], s[0:1], s8, v11, 0
	v_mov_b32_e32 v28, v0
	v_lshlrev_b64 v[27:28], 3, v[27:28]
	v_mov_b32_e32 v0, v2
	v_mad_u64_u32 v[52:53], s[0:1], s9, v11, v[0:1]
	v_add_co_u32_e64 v27, s[0:1], v31, v27
	v_or_b32_e32 v11, 0x50, v39
	v_addc_co_u32_e64 v28, s[0:1], v62, v28, s[0:1]
	v_mov_b32_e32 v2, v52
	v_mad_u64_u32 v[52:53], s[0:1], s8, v11, 0
	v_lshlrev_b64 v[0:1], 3, v[1:2]
	v_add_co_u32_e64 v0, s[0:1], v31, v0
	v_mov_b32_e32 v2, v53
	v_addc_co_u32_e64 v1, s[0:1], v62, v1, s[0:1]
	v_mad_u64_u32 v[53:54], s[0:1], s9, v11, v[2:3]
	global_load_dwordx2 v[54:55], v[27:28], off
	global_load_dwordx2 v[56:57], v[0:1], off
	global_load_dwordx2 v[58:59], v42, s[6:7] offset:512
	global_load_dwordx2 v[60:61], v42, s[6:7] offset:576
	s_waitcnt vmcnt(13)
	v_mul_f32_e32 v2, v17, v8
	v_lshlrev_b64 v[0:1], 3, v[52:53]
	v_fmac_f32_e32 v2, v16, v7
	v_add_co_u32_e64 v0, s[0:1], v31, v0
	v_addc_co_u32_e64 v1, s[0:1], v62, v1, s[0:1]
	global_load_dwordx2 v[27:28], v[0:1], off
	global_load_dwordx2 v[52:53], v42, s[6:7] offset:640
	v_mul_f32_e32 v0, v12, v4
	v_fma_f32 v1, v13, v3, -v0
	v_mul_f32_e32 v0, v13, v4
	v_fmac_f32_e32 v0, v12, v3
	ds_write_b64 v49, v[0:1]
	v_mul_f32_e32 v0, v15, v6
	v_mul_f32_e32 v1, v14, v6
	;; [unrolled: 1-line block ×3, first 2 shown]
	v_fmac_f32_e32 v0, v14, v5
	v_lshl_add_u32 v4, v26, 3, v42
	v_fma_f32 v1, v15, v5, -v1
	v_fma_f32 v3, v17, v7, -v3
	ds_write2_b64 v4, v[0:1], v[2:3] offset0:8 offset1:16
	s_waitcnt vmcnt(14)
	v_mul_f32_e32 v0, v19, v21
	v_mul_f32_e32 v1, v18, v21
	v_fmac_f32_e32 v0, v18, v20
	v_fma_f32 v1, v19, v20, -v1
	s_waitcnt vmcnt(9)
	v_mul_f32_e32 v2, v30, v10
	v_mul_f32_e32 v3, v29, v10
	v_fmac_f32_e32 v2, v29, v9
	v_fma_f32 v3, v30, v9, -v3
	ds_write2_b64 v4, v[0:1], v[2:3] offset0:24 offset1:32
	s_waitcnt vmcnt(8)
	v_mul_f32_e32 v0, v34, v23
	v_mul_f32_e32 v1, v33, v23
	s_waitcnt vmcnt(7)
	v_mul_f32_e32 v2, v36, v25
	v_mul_f32_e32 v3, v35, v25
	v_fmac_f32_e32 v0, v33, v22
	v_fma_f32 v1, v34, v22, -v1
	v_fmac_f32_e32 v2, v35, v24
	v_fma_f32 v3, v36, v24, -v3
	ds_write2_b64 v4, v[0:1], v[2:3] offset0:40 offset1:48
	s_waitcnt vmcnt(6)
	v_mul_f32_e32 v0, v38, v51
	v_mul_f32_e32 v1, v37, v51
	v_fmac_f32_e32 v0, v37, v50
	v_fma_f32 v1, v38, v50, -v1
	s_waitcnt vmcnt(3)
	v_mul_f32_e32 v2, v55, v59
	v_mul_f32_e32 v3, v54, v59
	v_fmac_f32_e32 v2, v54, v58
	v_fma_f32 v3, v55, v58, -v3
	ds_write2_b64 v4, v[0:1], v[2:3] offset0:56 offset1:64
	s_waitcnt vmcnt(2)
	v_mul_f32_e32 v0, v57, v61
	v_mul_f32_e32 v1, v56, v61
	v_fmac_f32_e32 v0, v56, v60
	v_fma_f32 v1, v57, v60, -v1
	s_waitcnt vmcnt(0)
	v_mul_f32_e32 v2, v28, v53
	v_mul_f32_e32 v3, v27, v53
	v_fmac_f32_e32 v2, v27, v52
	v_fma_f32 v3, v28, v52, -v3
	ds_write2_b64 v4, v[0:1], v[2:3] offset0:72 offset1:80
.LBB0_3:
	s_or_b64 exec, exec, s[14:15]
	s_load_dwordx2 s[0:1], s[4:5], 0x20
	s_load_dwordx2 s[8:9], s[4:5], 0x8
	v_mov_b32_e32 v24, 0
	v_mov_b32_e32 v25, 0
	v_lshlrev_b32_e32 v50, 3, v26
	s_waitcnt lgkmcnt(0)
	s_barrier
	s_waitcnt lgkmcnt(0)
                                        ; implicit-def: $vgpr4
                                        ; implicit-def: $vgpr20
                                        ; implicit-def: $vgpr18
                                        ; implicit-def: $vgpr14
                                        ; implicit-def: $vgpr10
	s_and_saveexec_b64 s[2:3], vcc
	s_cbranch_execz .LBB0_5
; %bb.4:
	v_lshl_add_u32 v0, v39, 3, v50
	ds_read_b64 v[24:25], v49
	ds_read2_b64 v[8:11], v0 offset0:8 offset1:16
	ds_read2_b64 v[12:15], v0 offset0:24 offset1:32
	;; [unrolled: 1-line block ×5, first 2 shown]
.LBB0_5:
	s_or_b64 exec, exec, s[2:3]
	s_waitcnt lgkmcnt(0)
	v_sub_f32_e32 v60, v9, v23
	v_mul_f32_e32 v31, 0xbf0a6770, v60
	v_sub_f32_e32 v64, v11, v21
	v_add_f32_e32 v27, v22, v8
	v_sub_f32_e32 v63, v8, v22
	v_mov_b32_e32 v0, v31
	v_mul_f32_e32 v38, 0xbf68dda4, v64
	v_add_f32_e32 v28, v23, v9
	s_mov_b32 s4, 0x3f575c64
	v_mul_f32_e32 v36, 0xbf0a6770, v63
	v_fmac_f32_e32 v0, 0x3f575c64, v27
	v_add_f32_e32 v29, v20, v10
	v_sub_f32_e32 v67, v10, v20
	v_mov_b32_e32 v2, v38
	v_add_f32_e32 v0, v0, v24
	v_fma_f32 v1, v28, s4, -v36
	s_mov_b32 s5, 0x3ed4b147
	v_add_f32_e32 v30, v21, v11
	v_mul_f32_e32 v54, 0xbf68dda4, v67
	v_fmac_f32_e32 v2, 0x3ed4b147, v29
	v_sub_f32_e32 v68, v13, v7
	v_add_f32_e32 v1, v1, v25
	v_add_f32_e32 v0, v2, v0
	v_fma_f32 v2, v30, s5, -v54
	v_mul_f32_e32 v57, 0xbf7d64f0, v68
	v_add_f32_e32 v1, v2, v1
	v_add_f32_e32 v35, v6, v12
	v_sub_f32_e32 v70, v12, v6
	v_mov_b32_e32 v2, v57
	s_mov_b32 s10, 0xbe11bafb
	v_add_f32_e32 v37, v7, v13
	v_mul_f32_e32 v58, 0xbf7d64f0, v70
	v_fmac_f32_e32 v2, 0xbe11bafb, v35
	v_sub_f32_e32 v71, v15, v5
	v_add_f32_e32 v0, v2, v0
	v_fma_f32 v2, v37, s10, -v58
	v_mul_f32_e32 v61, 0xbf4178ce, v71
	v_add_f32_e32 v1, v2, v1
	v_add_f32_e32 v51, v4, v14
	v_sub_f32_e32 v77, v14, v4
	v_mov_b32_e32 v2, v61
	s_mov_b32 s11, 0xbf27a4f4
	v_add_f32_e32 v55, v5, v15
	v_mul_f32_e32 v62, 0xbf4178ce, v77
	v_fmac_f32_e32 v2, 0xbf27a4f4, v51
	v_sub_f32_e32 v80, v17, v19
	v_add_f32_e32 v0, v2, v0
	v_fma_f32 v2, v55, s11, -v62
	v_mul_f32_e32 v65, 0xbe903f40, v80
	v_add_f32_e32 v1, v2, v1
	v_add_f32_e32 v56, v18, v16
	v_sub_f32_e32 v82, v16, v18
	v_mov_b32_e32 v2, v65
	s_mov_b32 s14, 0xbf75a155
	v_add_f32_e32 v59, v19, v17
	v_mul_f32_e32 v66, 0xbe903f40, v82
	v_fmac_f32_e32 v2, 0xbf75a155, v56
	v_mul_f32_e32 v53, 0xbf68dda4, v60
	v_add_f32_e32 v2, v2, v0
	v_fma_f32 v0, v59, s14, -v66
	v_add_f32_e32 v3, v0, v1
	v_mov_b32_e32 v0, v53
	v_mul_f32_e32 v69, 0xbf4178ce, v64
	v_fmac_f32_e32 v0, 0x3ed4b147, v27
	v_mov_b32_e32 v1, v69
	v_add_f32_e32 v0, v0, v24
	v_fmac_f32_e32 v1, 0xbf27a4f4, v29
	v_mul_f32_e32 v74, 0xbf68dda4, v63
	v_add_f32_e32 v0, v1, v0
	v_fma_f32 v1, v28, s5, -v74
	v_mul_f32_e32 v75, 0xbf4178ce, v67
	v_add_f32_e32 v1, v1, v25
	v_fma_f32 v33, v30, s11, -v75
	v_mul_f32_e32 v72, 0x3e903f40, v68
	v_add_f32_e32 v1, v33, v1
	v_mov_b32_e32 v33, v72
	v_fmac_f32_e32 v33, 0xbf75a155, v35
	v_mul_f32_e32 v78, 0x3e903f40, v70
	v_add_f32_e32 v0, v33, v0
	v_fma_f32 v33, v37, s14, -v78
	v_mul_f32_e32 v73, 0x3f7d64f0, v71
	v_add_f32_e32 v1, v33, v1
	v_mov_b32_e32 v33, v73
	v_fmac_f32_e32 v33, 0xbe11bafb, v51
	;; [unrolled: 7-line block ×3, first 2 shown]
	v_mul_f32_e32 v81, 0x3f0a6770, v82
	v_add_f32_e32 v0, v33, v0
	v_fma_f32 v33, v59, s4, -v81
	v_mul_f32_e32 v83, 0xbf7d64f0, v60
	v_add_f32_e32 v1, v33, v1
	v_mov_b32_e32 v33, v83
	v_mul_f32_e32 v84, 0x3e903f40, v64
	v_fmac_f32_e32 v33, 0xbe11bafb, v27
	v_mov_b32_e32 v34, v84
	v_add_f32_e32 v33, v33, v24
	v_fmac_f32_e32 v34, 0xbf75a155, v29
	v_mul_f32_e32 v87, 0xbf7d64f0, v63
	v_add_f32_e32 v33, v34, v33
	v_fma_f32 v34, v28, s10, -v87
	v_mul_f32_e32 v88, 0x3e903f40, v67
	v_add_f32_e32 v34, v34, v25
	v_fma_f32 v52, v30, s14, -v88
	v_mul_f32_e32 v85, 0x3f68dda4, v68
	v_add_f32_e32 v34, v52, v34
	v_mov_b32_e32 v52, v85
	v_fmac_f32_e32 v52, 0x3ed4b147, v35
	v_mul_f32_e32 v90, 0x3f68dda4, v70
	v_add_f32_e32 v33, v52, v33
	v_fma_f32 v52, v37, s5, -v90
	v_mul_f32_e32 v86, 0xbf0a6770, v71
	v_add_f32_e32 v34, v52, v34
	v_mov_b32_e32 v52, v86
	v_fmac_f32_e32 v52, 0x3f575c64, v51
	v_mul_f32_e32 v91, 0xbf0a6770, v77
	v_add_f32_e32 v33, v52, v33
	v_fma_f32 v52, v55, s4, -v91
	v_mul_f32_e32 v89, 0xbf4178ce, v80
	v_add_f32_e32 v34, v52, v34
	v_mov_b32_e32 v52, v89
	v_fmac_f32_e32 v52, 0xbf27a4f4, v56
	v_mul_f32_e32 v92, 0xbf4178ce, v82
	v_add_f32_e32 v33, v52, v33
	v_fma_f32 v52, v59, s11, -v92
	v_add_f32_e32 v34, v52, v34
	v_mul_lo_u16_e32 v52, 11, v39
	s_barrier
	s_and_saveexec_b64 s[2:3], vcc
	s_cbranch_execz .LBB0_7
; %bb.6:
	v_mul_f32_e32 v95, 0xbf75a155, v28
	v_mov_b32_e32 v93, v95
	v_mul_f32_e32 v96, 0x3f575c64, v30
	v_fmac_f32_e32 v93, 0x3e903f40, v63
	v_mov_b32_e32 v94, v96
	v_add_f32_e32 v93, v93, v25
	v_fmac_f32_e32 v94, 0xbf0a6770, v67
	v_mul_f32_e32 v97, 0xbf27a4f4, v37
	v_add_f32_e32 v93, v94, v93
	v_mov_b32_e32 v94, v97
	v_fmac_f32_e32 v95, 0xbe903f40, v63
	v_fmac_f32_e32 v94, 0x3f4178ce, v70
	v_mul_f32_e32 v98, 0x3ed4b147, v55
	v_add_f32_e32 v95, v95, v25
	v_fmac_f32_e32 v96, 0x3f0a6770, v67
	v_add_f32_e32 v93, v94, v93
	v_mov_b32_e32 v94, v98
	v_mul_f32_e32 v121, 0xbe903f40, v60
	v_add_f32_e32 v95, v96, v95
	v_fmac_f32_e32 v97, 0xbf4178ce, v70
	v_fmac_f32_e32 v94, 0xbf68dda4, v77
	v_mul_f32_e32 v120, 0xbe11bafb, v59
	v_mul_f32_e32 v122, 0x3f0a6770, v64
	v_add_f32_e32 v95, v97, v95
	v_fmac_f32_e32 v98, 0x3f68dda4, v77
	v_fma_f32 v96, v27, s14, -v121
	v_add_f32_e32 v93, v94, v93
	v_mov_b32_e32 v94, v120
	v_add_f32_e32 v95, v98, v95
	v_add_f32_e32 v96, v96, v24
	v_fma_f32 v97, v29, s4, -v122
	v_fmac_f32_e32 v120, 0xbf7d64f0, v82
	v_add_f32_e32 v97, v97, v96
	v_add_f32_e32 v96, v120, v95
	v_mul_f32_e32 v120, 0xbf4178ce, v63
	v_mov_b32_e32 v123, v122
	v_mov_b32_e32 v63, v120
	v_mul_f32_e32 v122, 0x3f7d64f0, v67
	v_fmac_f32_e32 v63, 0xbf27a4f4, v28
	v_mov_b32_e32 v67, v122
	v_fmac_f32_e32 v94, 0x3f7d64f0, v82
	v_add_f32_e32 v63, v63, v25
	v_fmac_f32_e32 v67, 0xbe11bafb, v30
	v_mul_f32_e32 v70, 0xbf0a6770, v70
	v_add_f32_e32 v94, v94, v93
	v_mov_b32_e32 v93, v121
	v_add_f32_e32 v63, v67, v63
	v_mov_b32_e32 v67, v70
	v_fmac_f32_e32 v93, 0xbf75a155, v27
	v_fmac_f32_e32 v67, 0x3f575c64, v37
	v_mul_f32_e32 v77, 0xbe903f40, v77
	v_add_f32_e32 v93, v93, v24
	v_fmac_f32_e32 v123, 0x3f575c64, v29
	v_add_f32_e32 v63, v67, v63
	v_mov_b32_e32 v67, v77
	v_add_f32_e32 v93, v123, v93
	v_mul_f32_e32 v123, 0xbf4178ce, v68
	v_fmac_f32_e32 v67, 0xbf75a155, v55
	v_mul_f32_e32 v82, 0x3f68dda4, v82
	v_mov_b32_e32 v124, v123
	v_add_f32_e32 v63, v67, v63
	v_mov_b32_e32 v67, v82
	v_fmac_f32_e32 v124, 0xbf27a4f4, v35
	v_fmac_f32_e32 v67, 0x3ed4b147, v59
	v_mul_f32_e32 v60, 0xbf4178ce, v60
	v_add_f32_e32 v93, v124, v93
	v_mul_f32_e32 v124, 0x3f68dda4, v71
	v_fma_f32 v95, v35, s11, -v123
	v_add_f32_e32 v98, v67, v63
	v_fma_f32 v63, v27, s11, -v60
	v_mul_f32_e32 v123, 0x3f7d64f0, v64
	v_mov_b32_e32 v125, v124
	v_add_f32_e32 v95, v95, v97
	v_fma_f32 v97, v51, s5, -v124
	v_add_f32_e32 v63, v63, v24
	v_fma_f32 v64, v29, s10, -v123
	v_mul_f32_e32 v124, 0xbf0a6770, v68
	v_fmac_f32_e32 v125, 0x3ed4b147, v51
	v_add_f32_e32 v63, v64, v63
	v_fma_f32 v64, v35, s4, -v124
	v_mul_f32_e32 v71, 0xbe903f40, v71
	v_add_f32_e32 v93, v125, v93
	v_mul_f32_e32 v125, 0xbf7d64f0, v80
	v_add_f32_e32 v63, v64, v63
	v_fma_f32 v64, v51, s14, -v71
	v_mul_f32_e32 v80, 0x3f68dda4, v80
	v_mul_f32_e32 v104, 0xbe11bafb, v28
	v_add_f32_e32 v95, v97, v95
	v_fma_f32 v97, v56, s10, -v125
	v_add_f32_e32 v63, v64, v63
	v_fma_f32 v64, v56, s5, -v80
	v_mul_f32_e32 v110, 0xbf75a155, v30
	v_add_f32_e32 v95, v97, v95
	v_add_f32_e32 v97, v64, v63
	;; [unrolled: 1-line block ×3, first 2 shown]
	v_mul_f32_e32 v116, 0x3ed4b147, v37
	v_add_f32_e32 v64, v64, v25
	v_add_f32_e32 v87, v88, v110
	v_mul_f32_e32 v128, 0x3f575c64, v55
	v_add_f32_e32 v64, v87, v64
	v_add_f32_e32 v87, v90, v116
	;; [unrolled: 3-line block ×4, first 2 shown]
	v_mul_f32_e32 v109, 0xbf75a155, v29
	v_add_f32_e32 v64, v68, v64
	v_sub_f32_e32 v68, v103, v83
	v_add_f32_e32 v9, v9, v25
	v_mul_f32_e32 v115, 0x3ed4b147, v35
	v_add_f32_e32 v68, v68, v24
	v_sub_f32_e32 v83, v109, v84
	v_add_f32_e32 v9, v11, v9
	;; [unrolled: 4-line block ×5, first 2 shown]
	v_mul_f32_e32 v108, 0xbf27a4f4, v30
	v_mov_b32_e32 v126, v125
	v_add_f32_e32 v63, v63, v68
	v_add_f32_e32 v68, v74, v102
	;; [unrolled: 1-line block ×3, first 2 shown]
	v_mul_f32_e32 v114, 0xbf75a155, v37
	v_fmac_f32_e32 v126, 0xbe11bafb, v56
	v_add_f32_e32 v68, v68, v25
	v_add_f32_e32 v74, v75, v108
	;; [unrolled: 1-line block ×4, first 2 shown]
	v_mul_f32_e32 v126, 0xbe11bafb, v55
	v_add_f32_e32 v68, v74, v68
	v_add_f32_e32 v74, v78, v114
	;; [unrolled: 1-line block ×4, first 2 shown]
	v_mul_f32_e32 v101, 0x3ed4b147, v27
	v_mul_f32_e32 v67, 0x3f575c64, v59
	v_add_f32_e32 v68, v74, v68
	v_add_f32_e32 v74, v79, v126
	v_add_f32_e32 v7, v10, v7
	v_mul_f32_e32 v107, 0xbf27a4f4, v29
	v_add_f32_e32 v68, v74, v68
	v_add_f32_e32 v67, v81, v67
	v_sub_f32_e32 v53, v101, v53
	v_add_f32_e32 v7, v12, v7
	v_mul_f32_e32 v113, 0xbf75a155, v35
	v_add_f32_e32 v68, v67, v68
	v_add_f32_e32 v53, v53, v24
	v_sub_f32_e32 v67, v107, v69
	v_add_f32_e32 v7, v14, v7
	v_mul_f32_e32 v119, 0xbe11bafb, v51
	v_add_f32_e32 v53, v67, v53
	v_sub_f32_e32 v67, v113, v72
	v_add_f32_e32 v7, v16, v7
	v_mul_f32_e32 v100, 0x3f575c64, v28
	v_mul_f32_e32 v121, 0x3f575c64, v56
	v_add_f32_e32 v53, v67, v53
	v_sub_f32_e32 v67, v119, v73
	v_add_f32_e32 v7, v18, v7
	v_mul_f32_e32 v106, 0x3ed4b147, v30
	v_add_f32_e32 v53, v67, v53
	v_sub_f32_e32 v67, v121, v76
	v_add_f32_e32 v36, v36, v100
	v_add_f32_e32 v4, v4, v7
	v_mul_f32_e32 v112, 0xbe11bafb, v37
	v_add_f32_e32 v67, v67, v53
	v_add_f32_e32 v36, v36, v25
	;; [unrolled: 1-line block ×4, first 2 shown]
	v_fma_f32 v6, v28, s11, -v120
	v_mul_f32_e32 v118, 0xbf27a4f4, v55
	v_add_f32_e32 v36, v53, v36
	v_add_f32_e32 v53, v58, v112
	;; [unrolled: 1-line block ×3, first 2 shown]
	v_fma_f32 v7, v30, s10, -v122
	v_mul_f32_e32 v99, 0x3f575c64, v27
	v_mul_f32_e32 v130, 0xbf75a155, v59
	v_add_f32_e32 v36, v53, v36
	v_add_f32_e32 v53, v62, v118
	;; [unrolled: 1-line block ×3, first 2 shown]
	v_fma_f32 v7, v37, s4, -v70
	v_mul_f32_e32 v105, 0x3ed4b147, v29
	v_add_f32_e32 v36, v53, v36
	v_add_f32_e32 v53, v66, v130
	v_sub_f32_e32 v31, v99, v31
	v_add_f32_e32 v6, v7, v6
	v_fma_f32 v7, v55, s14, -v77
	v_mul_f32_e32 v111, 0xbe11bafb, v35
	v_add_f32_e32 v54, v53, v36
	v_add_f32_e32 v31, v31, v24
	v_sub_f32_e32 v36, v105, v38
	v_add_f32_e32 v6, v7, v6
	v_fma_f32 v7, v59, s5, -v82
	v_fmac_f32_e32 v60, 0xbf27a4f4, v27
	v_mul_f32_e32 v117, 0xbf27a4f4, v51
	v_add_f32_e32 v31, v36, v31
	v_sub_f32_e32 v36, v111, v57
	v_add_f32_e32 v7, v7, v6
	v_add_f32_e32 v6, v60, v24
	v_fmac_f32_e32 v123, 0xbe11bafb, v29
	v_mul_f32_e32 v129, 0xbf75a155, v56
	v_add_f32_e32 v31, v36, v31
	v_sub_f32_e32 v36, v117, v61
	v_add_f32_e32 v6, v123, v6
	v_fmac_f32_e32 v124, 0x3f575c64, v35
	v_add_f32_e32 v31, v36, v31
	v_sub_f32_e32 v36, v129, v65
	v_add_f32_e32 v5, v21, v5
	v_add_f32_e32 v4, v20, v4
	;; [unrolled: 1-line block ×3, first 2 shown]
	v_fmac_f32_e32 v71, 0xbf75a155, v51
	v_add_f32_e32 v53, v36, v31
	v_add_f32_e32 v5, v23, v5
	;; [unrolled: 1-line block ×4, first 2 shown]
	v_fmac_f32_e32 v80, 0x3ed4b147, v56
	v_add_lshl_u32 v8, v26, v52, 3
	v_add_f32_e32 v6, v80, v6
	ds_write2_b64 v8, v[4:5], v[53:54] offset1:1
	ds_write2_b64 v8, v[67:68], v[63:64] offset0:2 offset1:3
	ds_write2_b64 v8, v[97:98], v[95:96] offset0:4 offset1:5
	;; [unrolled: 1-line block ×4, first 2 shown]
	ds_write_b64 v8, v[2:3] offset:80
.LBB0_7:
	s_or_b64 exec, exec, s[2:3]
	v_mad_u64_u32 v[16:17], s[4:5], v39, 56, s[8:9]
	s_load_dwordx4 s[0:3], s[0:1], 0x0
	s_waitcnt lgkmcnt(0)
	s_barrier
	global_load_dwordx4 v[12:15], v[16:17], off
	global_load_dwordx4 v[8:11], v[16:17], off offset:16
	global_load_dwordx4 v[4:7], v[16:17], off offset:32
	global_load_dwordx2 v[35:36], v[16:17], off offset:48
	v_add_lshl_u32 v53, v26, v39, 3
	ds_read2_b64 v[16:19], v53 offset1:11
	ds_read2_b64 v[20:23], v53 offset0:22 offset1:33
	ds_read2_b64 v[24:27], v53 offset0:44 offset1:55
	ds_read2_b64 v[28:31], v53 offset0:66 offset1:77
	s_waitcnt vmcnt(3) lgkmcnt(3)
	v_mul_f32_e32 v38, v18, v13
	s_waitcnt lgkmcnt(2)
	v_mul_f32_e32 v51, v21, v15
	v_mul_f32_e32 v54, v20, v15
	s_waitcnt vmcnt(2)
	v_mul_f32_e32 v56, v22, v9
	s_waitcnt lgkmcnt(1)
	v_mul_f32_e32 v57, v25, v11
	v_mul_f32_e32 v58, v24, v11
	s_waitcnt vmcnt(1)
	;; [unrolled: 5-line block ×3, first 2 shown]
	v_mul_f32_e32 v64, v30, v36
	v_mul_f32_e32 v37, v19, v13
	v_mul_f32_e32 v55, v23, v9
	v_mul_f32_e32 v59, v27, v5
	v_mul_f32_e32 v63, v31, v36
	v_fmac_f32_e32 v38, v19, v12
	v_fma_f32 v19, v20, v14, -v51
	v_fmac_f32_e32 v54, v21, v14
	v_fmac_f32_e32 v56, v23, v8
	v_fma_f32 v21, v24, v10, -v57
	v_fmac_f32_e32 v58, v25, v10
	;; [unrolled: 3-line block ×3, first 2 shown]
	v_fmac_f32_e32 v64, v31, v35
	v_fma_f32 v20, v22, v8, -v55
	v_fma_f32 v22, v26, v4, -v59
	;; [unrolled: 1-line block ×3, first 2 shown]
	v_sub_f32_e32 v21, v16, v21
	v_sub_f32_e32 v25, v17, v58
	;; [unrolled: 1-line block ×7, first 2 shown]
	v_fma_f32 v29, v16, 2.0, -v21
	v_fma_f32 v17, v17, 2.0, -v25
	;; [unrolled: 1-line block ×6, first 2 shown]
	v_fma_f32 v18, v18, v12, -v37
	v_sub_f32_e32 v51, v21, v26
	v_add_f32_e32 v55, v27, v24
	v_sub_f32_e32 v19, v17, v19
	v_sub_f32_e32 v26, v30, v31
	;; [unrolled: 1-line block ×3, first 2 shown]
	v_add_f32_e32 v54, v25, v23
	v_fma_f32 v58, v27, 2.0, -v55
	v_fma_f32 v17, v17, 2.0, -v19
	;; [unrolled: 1-line block ×5, first 2 shown]
	v_sub_f32_e32 v28, v22, v28
	v_fma_f32 v56, v21, 2.0, -v51
	v_fma_f32 v25, v25, 2.0, -v54
	v_sub_f32_e32 v31, v17, v27
	v_sub_f32_e32 v24, v29, v16
	;; [unrolled: 1-line block ×3, first 2 shown]
	v_fma_f32 v57, v22, 2.0, -v28
	v_mov_b32_e32 v16, v51
	v_mov_b32_e32 v20, v56
	;; [unrolled: 1-line block ×3, first 2 shown]
	v_fma_f32 v38, v17, 2.0, -v31
	v_mov_b32_e32 v17, v54
	v_fma_f32 v29, v29, 2.0, -v24
	v_fma_f32 v18, v18, 2.0, -v23
	v_fmac_f32_e32 v16, 0x3f3504f3, v28
	v_fmac_f32_e32 v20, 0xbf3504f3, v57
	;; [unrolled: 1-line block ×4, first 2 shown]
	v_sub_f32_e32 v22, v24, v26
	v_add_f32_e32 v23, v19, v23
	v_sub_f32_e32 v30, v29, v18
	v_fmac_f32_e32 v20, 0xbf3504f3, v58
	v_fmac_f32_e32 v21, 0x3f3504f3, v57
	;; [unrolled: 1-line block ×4, first 2 shown]
	v_fma_f32 v26, v24, 2.0, -v22
	v_fma_f32 v27, v19, 2.0, -v23
	;; [unrolled: 1-line block ×7, first 2 shown]
	v_lshl_add_u32 v51, v39, 3, v50
	ds_write2_b64 v51, v[37:38], v[24:25] offset1:11
	ds_write2_b64 v51, v[26:27], v[28:29] offset0:22 offset1:33
	ds_write2_b64 v51, v[30:31], v[20:21] offset0:44 offset1:55
	;; [unrolled: 1-line block ×3, first 2 shown]
	s_waitcnt lgkmcnt(0)
	s_barrier
	s_and_saveexec_b64 s[4:5], vcc
	s_cbranch_execz .LBB0_9
; %bb.8:
	global_load_dwordx2 v[18:19], v42, s[6:7] offset:704
	s_add_u32 s8, s6, 0x2c0
	s_addc_u32 s9, s7, 0
	global_load_dwordx2 v[74:75], v42, s[8:9] offset:64
	global_load_dwordx2 v[76:77], v42, s[8:9] offset:128
	;; [unrolled: 1-line block ×10, first 2 shown]
	ds_read_b64 v[54:55], v49
	s_waitcnt vmcnt(10) lgkmcnt(0)
	v_mul_f32_e32 v56, v55, v19
	v_mul_f32_e32 v57, v54, v19
	v_fma_f32 v56, v54, v18, -v56
	v_fmac_f32_e32 v57, v55, v18
	ds_write_b64 v49, v[56:57]
	ds_read2_b64 v[54:57], v51 offset0:8 offset1:16
	ds_read2_b64 v[58:61], v51 offset0:24 offset1:32
	;; [unrolled: 1-line block ×5, first 2 shown]
	s_waitcnt vmcnt(9) lgkmcnt(4)
	v_mul_f32_e32 v18, v55, v75
	v_mul_f32_e32 v19, v54, v75
	s_waitcnt vmcnt(8)
	v_mul_f32_e32 v94, v57, v77
	v_mul_f32_e32 v75, v56, v77
	s_waitcnt vmcnt(7) lgkmcnt(3)
	v_mul_f32_e32 v95, v59, v79
	v_mul_f32_e32 v77, v58, v79
	s_waitcnt vmcnt(6)
	v_mul_f32_e32 v96, v61, v81
	v_mul_f32_e32 v79, v60, v81
	;; [unrolled: 6-line block ×5, first 2 shown]
	v_fma_f32 v18, v54, v74, -v18
	v_fmac_f32_e32 v19, v55, v74
	v_fma_f32 v74, v56, v76, -v94
	v_fmac_f32_e32 v75, v57, v76
	;; [unrolled: 2-line block ×10, first 2 shown]
	ds_write2_b64 v51, v[18:19], v[74:75] offset0:8 offset1:16
	ds_write2_b64 v51, v[76:77], v[78:79] offset0:24 offset1:32
	;; [unrolled: 1-line block ×5, first 2 shown]
.LBB0_9:
	s_or_b64 exec, exec, s[4:5]
	s_waitcnt lgkmcnt(0)
	s_barrier
	s_and_saveexec_b64 s[4:5], vcc
	s_cbranch_execz .LBB0_11
; %bb.10:
	ds_read_b64 v[37:38], v49
	ds_read2_b64 v[16:19], v51 offset0:56 offset1:64
	ds_read2_b64 v[24:27], v51 offset0:8 offset1:16
	;; [unrolled: 1-line block ×5, first 2 shown]
	s_waitcnt lgkmcnt(4)
	v_mov_b32_e32 v33, v18
	v_mov_b32_e32 v34, v19
.LBB0_11:
	s_or_b64 exec, exec, s[4:5]
	s_waitcnt lgkmcnt(0)
	s_barrier
	s_and_saveexec_b64 s[4:5], vcc
	s_cbranch_execz .LBB0_13
; %bb.12:
	v_sub_f32_e32 v64, v24, v2
	v_mul_f32_e32 v54, 0xbe903f40, v64
	v_sub_f32_e32 v65, v26, v0
	v_add_f32_e32 v62, v3, v25
	v_mov_b32_e32 v18, v54
	v_mul_f32_e32 v55, 0x3f0a6770, v65
	v_fmac_f32_e32 v18, 0xbf75a155, v62
	v_add_f32_e32 v63, v1, v27
	v_mov_b32_e32 v19, v55
	v_sub_f32_e32 v66, v28, v33
	v_add_f32_e32 v18, v38, v18
	v_fmac_f32_e32 v19, 0x3f575c64, v63
	v_mul_f32_e32 v56, 0xbf4178ce, v66
	v_add_f32_e32 v18, v19, v18
	v_add_f32_e32 v67, v34, v29
	v_mov_b32_e32 v19, v56
	v_sub_f32_e32 v68, v30, v16
	v_fmac_f32_e32 v19, 0xbf27a4f4, v67
	v_mul_f32_e32 v57, 0x3f68dda4, v68
	v_add_f32_e32 v18, v19, v18
	v_add_f32_e32 v69, v17, v31
	v_mov_b32_e32 v19, v57
	v_sub_f32_e32 v70, v20, v22
	v_fmac_f32_e32 v19, 0x3ed4b147, v69
	v_mul_f32_e32 v58, 0xbf7d64f0, v70
	s_mov_b32 s8, 0xbf75a155
	v_add_f32_e32 v18, v19, v18
	v_add_f32_e32 v71, v23, v21
	v_mov_b32_e32 v19, v58
	v_sub_f32_e32 v73, v25, v3
	s_mov_b32 s9, 0x3f575c64
	v_fmac_f32_e32 v19, 0xbe11bafb, v71
	v_add_f32_e32 v72, v2, v24
	v_mul_f32_e32 v59, 0xbe903f40, v73
	v_sub_f32_e32 v75, v27, v1
	v_fma_f32 v54, v62, s8, -v54
	s_mov_b32 s10, 0xbf27a4f4
	v_add_f32_e32 v19, v19, v18
	v_fma_f32 v18, v72, s8, -v59
	v_add_f32_e32 v74, v0, v26
	v_mul_f32_e32 v60, 0x3f0a6770, v75
	v_add_f32_e32 v54, v38, v54
	v_fma_f32 v55, v63, s9, -v55
	s_mov_b32 s11, 0x3ed4b147
	v_add_f32_e32 v18, v37, v18
	v_fma_f32 v61, v74, s9, -v60
	v_sub_f32_e32 v77, v29, v34
	v_add_f32_e32 v54, v55, v54
	v_fma_f32 v55, v67, s10, -v56
	s_mov_b32 s14, 0xbe11bafb
	v_add_f32_e32 v18, v61, v18
	v_add_f32_e32 v76, v33, v28
	v_mul_f32_e32 v61, 0xbf4178ce, v77
	v_add_f32_e32 v54, v55, v54
	v_fma_f32 v55, v69, s11, -v57
	v_fma_f32 v78, v76, s10, -v61
	v_sub_f32_e32 v79, v31, v17
	v_add_f32_e32 v54, v55, v54
	v_fma_f32 v55, v71, s14, -v58
	v_fmac_f32_e32 v59, 0xbf75a155, v72
	v_add_f32_e32 v18, v78, v18
	v_add_f32_e32 v78, v16, v30
	v_mul_f32_e32 v80, 0x3f68dda4, v79
	v_add_f32_e32 v55, v55, v54
	v_add_f32_e32 v54, v37, v59
	v_fmac_f32_e32 v60, 0x3f575c64, v74
	v_fma_f32 v81, v78, s11, -v80
	v_sub_f32_e32 v82, v21, v23
	v_add_f32_e32 v54, v60, v54
	v_fmac_f32_e32 v61, 0xbf27a4f4, v76
	v_add_f32_e32 v18, v81, v18
	v_add_f32_e32 v81, v22, v20
	v_mul_f32_e32 v83, 0xbf7d64f0, v82
	v_add_f32_e32 v54, v61, v54
	v_fmac_f32_e32 v80, 0x3ed4b147, v78
	v_fma_f32 v84, v81, s14, -v83
	v_add_f32_e32 v54, v80, v54
	v_fmac_f32_e32 v83, 0xbe11bafb, v81
	v_mul_f32_e32 v80, 0xbf27a4f4, v62
	v_add_f32_e32 v54, v83, v54
	v_mov_b32_e32 v56, v80
	v_mul_f32_e32 v83, 0xbe11bafb, v63
	v_fmac_f32_e32 v56, 0x3f4178ce, v64
	v_mov_b32_e32 v57, v83
	v_add_f32_e32 v18, v84, v18
	v_add_f32_e32 v56, v38, v56
	v_fmac_f32_e32 v57, 0xbf7d64f0, v65
	v_mul_f32_e32 v84, 0x3f575c64, v67
	v_add_f32_e32 v56, v57, v56
	v_mov_b32_e32 v57, v84
	v_fmac_f32_e32 v57, 0x3f0a6770, v66
	v_mul_f32_e32 v85, 0xbf75a155, v69
	v_add_f32_e32 v56, v57, v56
	v_mov_b32_e32 v57, v85
	;; [unrolled: 4-line block ×4, first 2 shown]
	v_mul_f32_e32 v88, 0x3f7d64f0, v75
	v_fmac_f32_e32 v56, 0xbf27a4f4, v72
	v_mov_b32_e32 v58, v88
	v_add_f32_e32 v56, v37, v56
	v_fmac_f32_e32 v58, 0xbe11bafb, v74
	v_mul_f32_e32 v89, 0xbf0a6770, v77
	v_add_f32_e32 v56, v58, v56
	v_mov_b32_e32 v58, v89
	v_fmac_f32_e32 v58, 0x3f575c64, v76
	v_mul_f32_e32 v90, 0xbe903f40, v79
	v_add_f32_e32 v56, v58, v56
	v_mov_b32_e32 v58, v90
	;; [unrolled: 4-line block ×4, first 2 shown]
	v_mul_f32_e32 v93, 0xbf75a155, v63
	v_fmac_f32_e32 v58, 0x3f7d64f0, v64
	v_mov_b32_e32 v59, v93
	v_add_f32_e32 v58, v38, v58
	v_fmac_f32_e32 v59, 0xbe903f40, v65
	v_mul_f32_e32 v94, 0x3ed4b147, v67
	v_add_f32_e32 v58, v59, v58
	v_mov_b32_e32 v59, v94
	v_fmac_f32_e32 v59, 0xbf68dda4, v66
	v_mul_f32_e32 v95, 0x3f575c64, v69
	v_add_f32_e32 v25, v25, v38
	v_add_f32_e32 v58, v59, v58
	v_mov_b32_e32 v59, v95
	v_add_f32_e32 v25, v27, v25
	v_fmac_f32_e32 v59, 0x3f0a6770, v68
	v_mul_f32_e32 v96, 0xbf27a4f4, v71
	v_add_f32_e32 v25, v29, v25
	v_add_f32_e32 v58, v59, v58
	v_mov_b32_e32 v59, v96
	v_add_f32_e32 v25, v31, v25
	v_fmac_f32_e32 v59, 0x3f4178ce, v70
	v_mul_f32_e32 v97, 0xbf7d64f0, v73
	v_add_f32_e32 v21, v21, v25
	v_add_f32_e32 v59, v59, v58
	v_mov_b32_e32 v58, v97
	v_mul_f32_e32 v98, 0x3e903f40, v75
	v_add_f32_e32 v21, v23, v21
	v_fmac_f32_e32 v58, 0xbe11bafb, v72
	v_mov_b32_e32 v60, v98
	v_add_f32_e32 v17, v17, v21
	v_add_f32_e32 v58, v37, v58
	v_fmac_f32_e32 v60, 0xbf75a155, v74
	v_mul_f32_e32 v99, 0x3f68dda4, v77
	v_add_f32_e32 v17, v34, v17
	v_add_f32_e32 v58, v60, v58
	v_mov_b32_e32 v60, v99
	v_add_f32_e32 v1, v1, v17
	v_fmac_f32_e32 v60, 0x3ed4b147, v76
	v_mul_f32_e32 v100, 0xbf0a6770, v79
	v_add_f32_e32 v1, v3, v1
	v_add_f32_e32 v3, v24, v37
	;; [unrolled: 1-line block ×3, first 2 shown]
	v_mov_b32_e32 v60, v100
	v_add_f32_e32 v3, v26, v3
	v_fmac_f32_e32 v60, 0x3f575c64, v78
	v_mul_f32_e32 v101, 0xbf4178ce, v82
	v_add_f32_e32 v3, v28, v3
	v_add_f32_e32 v58, v60, v58
	v_mov_b32_e32 v60, v101
	v_add_f32_e32 v3, v30, v3
	v_fmac_f32_e32 v60, 0xbf27a4f4, v81
	v_mul_f32_e32 v102, 0x3ed4b147, v62
	v_add_f32_e32 v3, v20, v3
	v_add_f32_e32 v58, v60, v58
	v_mov_b32_e32 v60, v102
	v_mul_f32_e32 v103, 0xbf27a4f4, v63
	v_add_f32_e32 v3, v22, v3
	v_fmac_f32_e32 v60, 0x3f68dda4, v64
	v_mov_b32_e32 v61, v103
	v_add_f32_e32 v3, v16, v3
	v_add_f32_e32 v60, v38, v60
	v_fmac_f32_e32 v61, 0x3f4178ce, v65
	v_mul_f32_e32 v104, 0xbf75a155, v67
	v_add_f32_e32 v3, v33, v3
	v_add_f32_e32 v60, v61, v60
	v_mov_b32_e32 v61, v104
	v_add_f32_e32 v0, v0, v3
	v_fmac_f32_e32 v80, 0xbf4178ce, v64
	v_fmac_f32_e32 v61, 0xbe903f40, v66
	v_mul_f32_e32 v105, 0xbe11bafb, v69
	v_add_f32_e32 v0, v2, v0
	v_add_f32_e32 v2, v38, v80
	v_fmac_f32_e32 v83, 0x3f7d64f0, v65
	v_add_f32_e32 v60, v61, v60
	v_mov_b32_e32 v61, v105
	v_add_f32_e32 v2, v83, v2
	v_fmac_f32_e32 v84, 0xbf0a6770, v66
	v_fmac_f32_e32 v61, 0xbf7d64f0, v68
	v_mul_f32_e32 v106, 0x3f575c64, v71
	v_add_f32_e32 v2, v84, v2
	v_fmac_f32_e32 v85, 0xbe903f40, v68
	v_add_f32_e32 v60, v61, v60
	v_mov_b32_e32 v61, v106
	v_add_f32_e32 v2, v85, v2
	v_fmac_f32_e32 v86, 0x3f68dda4, v70
	v_fmac_f32_e32 v61, 0xbf0a6770, v70
	v_mul_f32_e32 v107, 0xbf68dda4, v73
	v_add_f32_e32 v3, v86, v2
	v_fma_f32 v2, v72, s10, -v87
	v_add_f32_e32 v61, v61, v60
	v_mov_b32_e32 v60, v107
	v_mul_f32_e32 v108, 0xbf4178ce, v75
	v_add_f32_e32 v2, v37, v2
	v_fma_f32 v16, v74, s14, -v88
	v_fmac_f32_e32 v60, 0x3ed4b147, v72
	v_mov_b32_e32 v109, v108
	v_add_f32_e32 v2, v16, v2
	v_fma_f32 v16, v76, s9, -v89
	v_add_f32_e32 v60, v37, v60
	v_fmac_f32_e32 v109, 0xbf27a4f4, v74
	v_add_f32_e32 v2, v16, v2
	v_fma_f32 v16, v78, s8, -v90
	v_add_f32_e32 v60, v109, v60
	v_mul_f32_e32 v109, 0x3e903f40, v77
	v_add_f32_e32 v2, v16, v2
	v_fma_f32 v16, v81, s11, -v91
	v_fmac_f32_e32 v92, 0xbf7d64f0, v64
	v_mov_b32_e32 v110, v109
	v_add_f32_e32 v2, v16, v2
	v_add_f32_e32 v16, v38, v92
	v_fmac_f32_e32 v93, 0x3e903f40, v65
	v_fmac_f32_e32 v110, 0xbf75a155, v76
	v_add_f32_e32 v16, v93, v16
	v_fmac_f32_e32 v94, 0x3f68dda4, v66
	v_add_f32_e32 v60, v110, v60
	v_mul_f32_e32 v110, 0x3f7d64f0, v79
	v_add_f32_e32 v16, v94, v16
	v_fmac_f32_e32 v95, 0xbf0a6770, v68
	v_mov_b32_e32 v111, v110
	v_add_f32_e32 v16, v95, v16
	v_fmac_f32_e32 v96, 0xbf4178ce, v70
	v_fmac_f32_e32 v111, 0xbe11bafb, v78
	v_add_f32_e32 v17, v96, v16
	v_fma_f32 v16, v72, s14, -v97
	v_add_f32_e32 v60, v111, v60
	v_mul_f32_e32 v111, 0x3f0a6770, v82
	v_add_f32_e32 v16, v37, v16
	v_fma_f32 v20, v74, s8, -v98
	v_mov_b32_e32 v112, v111
	v_add_f32_e32 v16, v20, v16
	v_fma_f32 v20, v76, s11, -v99
	v_fmac_f32_e32 v112, 0x3f575c64, v81
	v_add_f32_e32 v16, v20, v16
	v_fma_f32 v20, v78, s9, -v100
	v_add_f32_e32 v60, v112, v60
	v_mul_f32_e32 v112, 0x3f575c64, v62
	v_add_f32_e32 v16, v20, v16
	v_fma_f32 v20, v81, s10, -v101
	v_fmac_f32_e32 v102, 0xbf68dda4, v64
	v_mov_b32_e32 v62, v112
	v_mul_f32_e32 v113, 0x3ed4b147, v63
	v_add_f32_e32 v16, v20, v16
	v_add_f32_e32 v20, v38, v102
	v_fmac_f32_e32 v103, 0xbf4178ce, v65
	v_fmac_f32_e32 v62, 0x3f0a6770, v64
	v_mov_b32_e32 v63, v113
	v_add_f32_e32 v20, v103, v20
	v_fmac_f32_e32 v104, 0x3e903f40, v66
	v_add_f32_e32 v62, v38, v62
	v_fmac_f32_e32 v63, 0x3f68dda4, v65
	v_mul_f32_e32 v67, 0xbe11bafb, v67
	v_add_f32_e32 v20, v104, v20
	v_fmac_f32_e32 v105, 0x3f7d64f0, v68
	v_add_f32_e32 v62, v63, v62
	v_mov_b32_e32 v63, v67
	v_add_f32_e32 v20, v105, v20
	v_fmac_f32_e32 v106, 0x3f0a6770, v70
	v_fmac_f32_e32 v63, 0x3f7d64f0, v66
	v_mul_f32_e32 v69, 0xbf27a4f4, v69
	v_add_f32_e32 v21, v106, v20
	v_fma_f32 v20, v72, s11, -v107
	v_add_f32_e32 v62, v63, v62
	v_mov_b32_e32 v63, v69
	v_add_f32_e32 v20, v37, v20
	v_fma_f32 v22, v74, s10, -v108
	v_fmac_f32_e32 v63, 0x3f4178ce, v68
	v_mul_f32_e32 v71, 0xbf75a155, v71
	v_add_f32_e32 v20, v22, v20
	v_fma_f32 v22, v76, s8, -v109
	v_add_f32_e32 v62, v63, v62
	v_mov_b32_e32 v63, v71
	v_add_f32_e32 v20, v22, v20
	v_fma_f32 v22, v78, s14, -v110
	v_fmac_f32_e32 v63, 0x3e903f40, v70
	v_mul_f32_e32 v73, 0xbf0a6770, v73
	v_add_f32_e32 v20, v22, v20
	v_fma_f32 v22, v81, s9, -v111
	v_fmac_f32_e32 v112, 0xbf0a6770, v64
	v_add_f32_e32 v63, v63, v62
	v_mov_b32_e32 v62, v73
	v_mul_f32_e32 v75, 0xbf68dda4, v75
	v_add_f32_e32 v20, v22, v20
	v_add_f32_e32 v22, v38, v112
	v_fmac_f32_e32 v113, 0xbf68dda4, v65
	v_fmac_f32_e32 v62, 0x3f575c64, v72
	v_mov_b32_e32 v114, v75
	v_add_f32_e32 v22, v113, v22
	v_fmac_f32_e32 v67, 0xbf7d64f0, v66
	v_add_f32_e32 v62, v37, v62
	v_fmac_f32_e32 v114, 0x3ed4b147, v74
	v_mul_f32_e32 v77, 0xbf7d64f0, v77
	v_add_f32_e32 v22, v67, v22
	v_fmac_f32_e32 v69, 0xbf4178ce, v68
	v_add_f32_e32 v62, v114, v62
	v_mov_b32_e32 v114, v77
	v_add_f32_e32 v22, v69, v22
	v_fmac_f32_e32 v71, 0xbe903f40, v70
	v_fmac_f32_e32 v114, 0xbe11bafb, v76
	v_mul_f32_e32 v79, 0xbf4178ce, v79
	v_add_f32_e32 v23, v71, v22
	v_fma_f32 v22, v72, s9, -v73
	v_add_f32_e32 v62, v114, v62
	v_mov_b32_e32 v114, v79
	v_add_f32_e32 v22, v37, v22
	v_fma_f32 v24, v74, s11, -v75
	v_fmac_f32_e32 v114, 0xbf27a4f4, v78
	v_mul_f32_e32 v82, 0xbe903f40, v82
	v_add_f32_e32 v22, v24, v22
	v_fma_f32 v24, v76, s14, -v77
	v_add_f32_e32 v62, v114, v62
	v_mov_b32_e32 v114, v82
	v_add_f32_e32 v22, v24, v22
	v_fma_f32 v24, v78, s10, -v79
	v_fmac_f32_e32 v114, 0xbf75a155, v81
	v_add_f32_e32 v22, v24, v22
	v_fma_f32 v24, v81, s8, -v82
	v_add_f32_e32 v62, v114, v62
	v_add_f32_e32 v22, v24, v22
	v_lshl_add_u32 v24, v52, 3, v50
	ds_write2_b64 v24, v[0:1], v[62:63] offset1:1
	ds_write2_b64 v24, v[60:61], v[58:59] offset0:2 offset1:3
	ds_write2_b64 v24, v[56:57], v[54:55] offset0:4 offset1:5
	;; [unrolled: 1-line block ×4, first 2 shown]
	ds_write_b64 v24, v[22:23] offset:80
.LBB0_13:
	s_or_b64 exec, exec, s[4:5]
	s_waitcnt lgkmcnt(0)
	s_barrier
	ds_read2_b64 v[0:3], v53 offset1:11
	ds_read2_b64 v[16:19], v53 offset0:22 offset1:33
	ds_read2_b64 v[20:23], v53 offset0:44 offset1:55
	;; [unrolled: 1-line block ×3, first 2 shown]
	s_waitcnt lgkmcnt(3)
	v_mul_f32_e32 v28, v13, v3
	v_fmac_f32_e32 v28, v12, v2
	v_mul_f32_e32 v2, v13, v2
	s_waitcnt lgkmcnt(2)
	v_mul_f32_e32 v13, v9, v19
	v_mul_f32_e32 v9, v9, v18
	v_fmac_f32_e32 v13, v8, v18
	v_fma_f32 v8, v8, v19, -v9
	s_waitcnt lgkmcnt(1)
	v_mul_f32_e32 v9, v11, v21
	v_mul_f32_e32 v11, v11, v20
	v_fmac_f32_e32 v9, v10, v20
	v_fma_f32 v10, v10, v21, -v11
	v_mul_f32_e32 v11, v5, v23
	v_mul_f32_e32 v5, v5, v22
	v_fmac_f32_e32 v11, v4, v22
	v_fma_f32 v4, v4, v23, -v5
	s_waitcnt lgkmcnt(0)
	v_mul_f32_e32 v5, v7, v25
	v_mul_f32_e32 v7, v7, v24
	v_fma_f32 v2, v12, v3, -v2
	v_mul_f32_e32 v3, v15, v17
	v_mul_f32_e32 v12, v15, v16
	v_fmac_f32_e32 v5, v6, v24
	v_fma_f32 v6, v6, v25, -v7
	v_mul_f32_e32 v7, v36, v27
	v_fmac_f32_e32 v3, v14, v16
	v_fma_f32 v12, v14, v17, -v12
	v_fmac_f32_e32 v7, v35, v26
	v_mul_f32_e32 v14, v36, v26
	v_sub_f32_e32 v9, v0, v9
	v_sub_f32_e32 v10, v1, v10
	;; [unrolled: 1-line block ×6, first 2 shown]
	v_fma_f32 v14, v35, v27, -v14
	v_fma_f32 v0, v0, 2.0, -v9
	v_fma_f32 v3, v3, 2.0, -v5
	;; [unrolled: 1-line block ×4, first 2 shown]
	v_add_f32_e32 v18, v9, v6
	v_sub_f32_e32 v19, v10, v5
	v_fma_f32 v1, v1, 2.0, -v10
	v_fma_f32 v12, v12, 2.0, -v6
	v_sub_f32_e32 v4, v2, v4
	v_sub_f32_e32 v14, v8, v14
	v_sub_f32_e32 v16, v0, v3
	v_fma_f32 v6, v9, 2.0, -v18
	v_fma_f32 v9, v10, 2.0, -v19
	v_sub_f32_e32 v10, v15, v13
	v_fma_f32 v8, v8, 2.0, -v14
	v_fma_f32 v3, v0, 2.0, -v16
	;; [unrolled: 1-line block ×3, first 2 shown]
	v_add_f32_e32 v14, v11, v14
	v_sub_f32_e32 v15, v4, v7
	v_fma_f32 v7, v11, 2.0, -v14
	v_fma_f32 v11, v4, 2.0, -v15
	v_mov_b32_e32 v5, v9
	v_fmac_f32_e32 v5, 0xbf3504f3, v11
	v_fma_f32 v2, v2, 2.0, -v4
	v_sub_f32_e32 v12, v1, v12
	v_mov_b32_e32 v4, v6
	v_fmac_f32_e32 v5, 0xbf3504f3, v7
	v_sub_f32_e32 v8, v2, v8
	v_fmac_f32_e32 v4, 0xbf3504f3, v7
	v_fma_f32 v7, v9, 2.0, -v5
	v_sub_f32_e32 v9, v12, v10
	v_fma_f32 v17, v1, 2.0, -v12
	v_fma_f32 v1, v2, 2.0, -v8
	v_fmac_f32_e32 v4, 0x3f3504f3, v11
	v_fma_f32 v11, v12, 2.0, -v9
	v_mov_b32_e32 v12, v18
	v_mov_b32_e32 v13, v19
	v_sub_f32_e32 v0, v3, v0
	v_sub_f32_e32 v1, v17, v1
	v_fmac_f32_e32 v12, 0x3f3504f3, v14
	v_fmac_f32_e32 v13, 0x3f3504f3, v15
	v_fma_f32 v2, v3, 2.0, -v0
	v_fma_f32 v3, v17, 2.0, -v1
	;; [unrolled: 1-line block ×3, first 2 shown]
	v_add_f32_e32 v8, v16, v8
	v_fmac_f32_e32 v12, 0x3f3504f3, v15
	v_fmac_f32_e32 v13, 0xbf3504f3, v14
	v_fma_f32 v10, v16, 2.0, -v8
	v_fma_f32 v14, v18, 2.0, -v12
	;; [unrolled: 1-line block ×3, first 2 shown]
	ds_write2_b64 v51, v[2:3], v[6:7] offset1:11
	ds_write2_b64 v51, v[10:11], v[14:15] offset0:22 offset1:33
	ds_write2_b64 v51, v[0:1], v[4:5] offset0:44 offset1:55
	;; [unrolled: 1-line block ×3, first 2 shown]
	s_waitcnt lgkmcnt(0)
	s_barrier
	s_and_b64 exec, exec, vcc
	s_cbranch_execz .LBB0_15
; %bb.14:
	global_load_dwordx2 v[8:9], v42, s[6:7]
	global_load_dwordx2 v[10:11], v42, s[6:7] offset:64
	global_load_dwordx2 v[12:13], v42, s[6:7] offset:128
	;; [unrolled: 1-line block ×3, first 2 shown]
	ds_read_b64 v[18:19], v49
	ds_read2_b64 v[0:3], v51 offset0:8 offset1:16
	ds_read2_b64 v[4:7], v51 offset0:24 offset1:32
	global_load_dwordx2 v[26:27], v42, s[6:7] offset:256
	global_load_dwordx2 v[28:29], v42, s[6:7] offset:320
	;; [unrolled: 1-line block ×4, first 2 shown]
	v_mad_u64_u32 v[16:17], s[4:5], s2, v32, 0
	v_mad_u64_u32 v[20:21], s[8:9], s0, v39, 0
	;; [unrolled: 1-line block ×4, first 2 shown]
	s_waitcnt lgkmcnt(2)
	v_mad_u64_u32 v[35:36], s[2:3], s3, v32, v[17:18]
	v_mad_u64_u32 v[36:37], s[2:3], s1, v39, v[21:22]
	;; [unrolled: 1-line block ×3, first 2 shown]
	v_mov_b32_e32 v17, v35
	v_lshlrev_b64 v[16:17], 3, v[16:17]
	v_mov_b32_e32 v21, v36
	v_mov_b32_e32 v49, s13
	v_lshlrev_b64 v[20:21], 3, v[20:21]
	v_add_co_u32_e32 v32, vcc, s12, v16
	v_mov_b32_e32 v23, v37
	v_addc_co_u32_e32 v35, vcc, v49, v17, vcc
	v_lshlrev_b64 v[22:23], 3, v[22:23]
	v_add_co_u32_e32 v16, vcc, v32, v20
	v_addc_co_u32_e32 v17, vcc, v35, v21, vcc
	v_add_co_u32_e32 v20, vcc, v32, v22
	v_addc_co_u32_e32 v21, vcc, v35, v23, vcc
	s_mov_b32 s4, 0x745d1746
	s_mov_b32 s5, 0x3f8745d1
	s_waitcnt vmcnt(5) lgkmcnt(1)
	v_mul_f32_e32 v36, v3, v13
	v_mul_f32_e32 v13, v2, v13
	s_waitcnt vmcnt(3)
	v_mad_u64_u32 v[47:48], s[2:3], s1, v48, v[25:26]
	s_waitcnt lgkmcnt(0)
	v_mul_f32_e32 v37, v5, v15
	v_mul_f32_e32 v15, v4, v15
	v_mov_b32_e32 v25, v47
	v_lshlrev_b64 v[24:25], 3, v[24:25]
	v_fmac_f32_e32 v36, v2, v12
	v_add_co_u32_e32 v22, vcc, v32, v24
	v_mul_f32_e32 v24, v19, v9
	v_mul_f32_e32 v9, v18, v9
	v_addc_co_u32_e32 v23, vcc, v35, v25, vcc
	v_mul_f32_e32 v25, v1, v11
	v_mul_f32_e32 v11, v0, v11
	v_fmac_f32_e32 v24, v18, v8
	v_fma_f32 v8, v8, v19, -v9
	v_fmac_f32_e32 v25, v0, v10
	v_fma_f32 v9, v10, v1, -v11
	v_fma_f32 v12, v12, v3, -v13
	v_cvt_f64_f32_e32 v[0:1], v24
	v_cvt_f64_f32_e32 v[2:3], v8
	v_fmac_f32_e32 v37, v4, v14
	v_fma_f32 v18, v14, v5, -v15
	v_cvt_f64_f32_e32 v[4:5], v25
	v_cvt_f64_f32_e32 v[8:9], v9
	;; [unrolled: 1-line block ×5, first 2 shown]
	v_mul_f64 v[0:1], v[0:1], s[4:5]
	v_mul_f64 v[2:3], v[2:3], s[4:5]
	;; [unrolled: 1-line block ×7, first 2 shown]
	v_cvt_f64_f32_e32 v[18:19], v18
	v_cvt_f32_f64_e32 v0, v[0:1]
	v_cvt_f32_f64_e32 v1, v[2:3]
	;; [unrolled: 1-line block ×6, first 2 shown]
	global_store_dwordx2 v[16:17], v[0:1], off
	global_store_dwordx2 v[20:21], v[2:3], off
	v_mad_u64_u32 v[0:1], s[2:3], s0, v46, 0
	v_cvt_f32_f64_e32 v2, v[14:15]
	global_store_dwordx2 v[22:23], v[4:5], off
	v_mul_f64 v[18:19], v[18:19], s[4:5]
	v_mad_u64_u32 v[11:12], s[2:3], s0, v45, 0
	v_mad_u64_u32 v[4:5], s[2:3], s1, v46, v[1:2]
	v_mul_f32_e32 v1, v7, v27
	v_fmac_f32_e32 v1, v6, v26
	v_cvt_f64_f32_e32 v[8:9], v1
	v_mul_f32_e32 v1, v6, v27
	v_fma_f32 v1, v26, v7, -v1
	v_cvt_f64_f32_e32 v[5:6], v1
	v_mov_b32_e32 v1, v4
	v_mul_f64 v[7:8], v[8:9], s[4:5]
	v_cvt_f32_f64_e32 v3, v[18:19]
	v_mul_f64 v[4:5], v[5:6], s[4:5]
	v_lshlrev_b64 v[0:1], 3, v[0:1]
	global_load_dwordx2 v[9:10], v42, s[6:7] offset:512
	v_add_co_u32_e32 v0, vcc, v32, v0
	v_addc_co_u32_e32 v1, vcc, v35, v1, vcc
	global_store_dwordx2 v[0:1], v[2:3], off
	ds_read2_b64 v[0:3], v51 offset0:40 offset1:48
	v_cvt_f32_f64_e32 v6, v[7:8]
	v_cvt_f32_f64_e32 v7, v[4:5]
	v_mov_b32_e32 v4, v12
	v_mad_u64_u32 v[4:5], s[2:3], s1, v45, v[4:5]
	s_waitcnt vmcnt(7) lgkmcnt(0)
	v_mul_f32_e32 v5, v1, v29
	v_fmac_f32_e32 v5, v0, v28
	v_cvt_f64_f32_e32 v[13:14], v5
	v_mov_b32_e32 v12, v4
	v_lshlrev_b64 v[4:5], 3, v[11:12]
	v_mul_f32_e32 v0, v0, v29
	v_mul_f64 v[11:12], v[13:14], s[4:5]
	global_load_dwordx2 v[13:14], v42, s[6:7] offset:576
	global_load_dwordx2 v[17:18], v42, s[6:7] offset:640
	v_fma_f32 v0, v28, v1, -v0
	v_cvt_f64_f32_e32 v[0:1], v0
	v_mad_u64_u32 v[15:16], s[2:3], s0, v44, 0
	v_add_co_u32_e32 v4, vcc, v32, v4
	v_mul_f64 v[0:1], v[0:1], s[4:5]
	v_addc_co_u32_e32 v5, vcc, v35, v5, vcc
	global_store_dwordx2 v[4:5], v[6:7], off
	v_cvt_f32_f64_e32 v4, v[11:12]
	v_cvt_f32_f64_e32 v5, v[0:1]
	v_mov_b32_e32 v0, v16
	v_mad_u64_u32 v[0:1], s[2:3], s1, v44, v[0:1]
	s_waitcnt vmcnt(9)
	v_mul_f32_e32 v1, v3, v31
	v_fmac_f32_e32 v1, v2, v30
	v_cvt_f64_f32_e32 v[6:7], v1
	v_mul_f32_e32 v1, v2, v31
	v_fma_f32 v1, v30, v3, -v1
	v_cvt_f64_f32_e32 v[1:2], v1
	v_mul_f64 v[6:7], v[6:7], s[4:5]
	v_mov_b32_e32 v16, v0
	v_lshlrev_b64 v[11:12], 3, v[15:16]
	v_mul_f64 v[15:16], v[1:2], s[4:5]
	v_add_co_u32_e32 v0, vcc, v32, v11
	v_addc_co_u32_e32 v1, vcc, v35, v12, vcc
	global_store_dwordx2 v[0:1], v[4:5], off
	ds_read2_b64 v[0:3], v51 offset0:56 offset1:64
	v_mad_u64_u32 v[4:5], s[2:3], s0, v43, 0
	v_cvt_f32_f64_e32 v6, v[6:7]
	v_cvt_f32_f64_e32 v7, v[15:16]
	v_mad_u64_u32 v[11:12], s[2:3], s1, v43, v[5:6]
	s_waitcnt vmcnt(9) lgkmcnt(0)
	v_mul_f32_e32 v5, v1, v34
	v_fmac_f32_e32 v5, v0, v33
	v_mul_f32_e32 v0, v0, v34
	v_fma_f32 v0, v33, v1, -v0
	v_cvt_f64_f32_e32 v[0:1], v0
	v_cvt_f64_f32_e32 v[15:16], v5
	v_mov_b32_e32 v5, v11
	v_lshlrev_b64 v[4:5], 3, v[4:5]
	v_mul_f64 v[0:1], v[0:1], s[4:5]
	v_mul_f64 v[11:12], v[15:16], s[4:5]
	v_mad_u64_u32 v[15:16], s[2:3], s0, v41, 0
	v_add_co_u32_e32 v4, vcc, v32, v4
	v_addc_co_u32_e32 v5, vcc, v35, v5, vcc
	global_store_dwordx2 v[4:5], v[6:7], off
	v_cvt_f32_f64_e32 v5, v[0:1]
	v_mov_b32_e32 v0, v16
	v_mad_u64_u32 v[0:1], s[2:3], s1, v41, v[0:1]
	s_waitcnt vmcnt(6)
	v_mul_f32_e32 v1, v3, v10
	v_fmac_f32_e32 v1, v2, v9
	v_cvt_f64_f32_e32 v[6:7], v1
	v_mul_f32_e32 v1, v2, v10
	v_mov_b32_e32 v16, v0
	v_fma_f32 v1, v9, v3, -v1
	v_lshlrev_b64 v[8:9], 3, v[15:16]
	v_mad_u64_u32 v[15:16], s[2:3], s0, v40, 0
	v_cvt_f64_f32_e32 v[1:2], v1
	v_mul_f64 v[6:7], v[6:7], s[4:5]
	v_mov_b32_e32 v0, v16
	v_cvt_f32_f64_e32 v4, v[11:12]
	v_mul_f64 v[10:11], v[1:2], s[4:5]
	v_mad_u64_u32 v[19:20], s[2:3], s1, v40, v[0:1]
	ds_read2_b64 v[0:3], v51 offset0:72 offset1:80
	v_add_co_u32_e32 v8, vcc, v32, v8
	v_addc_co_u32_e32 v9, vcc, v35, v9, vcc
	global_store_dwordx2 v[8:9], v[4:5], off
	v_cvt_f32_f64_e32 v4, v[6:7]
	s_waitcnt vmcnt(5) lgkmcnt(0)
	v_mul_f32_e32 v6, v1, v14
	v_fmac_f32_e32 v6, v0, v13
	v_mul_f32_e32 v0, v0, v14
	v_fma_f32 v0, v13, v1, -v0
	v_cvt_f64_f32_e32 v[0:1], v0
	v_cvt_f64_f32_e32 v[6:7], v6
	v_mov_b32_e32 v16, v19
	v_cvt_f32_f64_e32 v5, v[10:11]
	v_mul_f64 v[0:1], v[0:1], s[4:5]
	v_lshlrev_b64 v[8:9], 3, v[15:16]
	v_or_b32_e32 v12, 0x48, v39
	v_mul_f64 v[6:7], v[6:7], s[4:5]
	v_mad_u64_u32 v[10:11], s[2:3], s0, v12, 0
	v_add_co_u32_e32 v8, vcc, v32, v8
	v_addc_co_u32_e32 v9, vcc, v35, v9, vcc
	global_store_dwordx2 v[8:9], v[4:5], off
	v_cvt_f32_f64_e32 v5, v[0:1]
	s_waitcnt vmcnt(5)
	v_mul_f32_e32 v0, v3, v18
	v_fmac_f32_e32 v0, v2, v17
	v_mul_f32_e32 v2, v2, v18
	v_mad_u64_u32 v[11:12], s[2:3], s1, v12, v[11:12]
	v_fma_f32 v2, v17, v3, -v2
	v_cvt_f64_f32_e32 v[0:1], v0
	v_cvt_f64_f32_e32 v[2:3], v2
	v_cvt_f32_f64_e32 v4, v[6:7]
	v_lshlrev_b64 v[6:7], 3, v[10:11]
	v_or_b32_e32 v10, 0x50, v39
	v_mul_f64 v[0:1], v[0:1], s[4:5]
	v_mul_f64 v[2:3], v[2:3], s[4:5]
	v_mad_u64_u32 v[8:9], s[2:3], s0, v10, 0
	v_add_co_u32_e32 v6, vcc, v32, v6
	v_mad_u64_u32 v[9:10], s[0:1], s1, v10, v[9:10]
	v_cvt_f32_f64_e32 v0, v[0:1]
	v_cvt_f32_f64_e32 v1, v[2:3]
	v_lshlrev_b64 v[2:3], 3, v[8:9]
	v_addc_co_u32_e32 v7, vcc, v35, v7, vcc
	v_add_co_u32_e32 v2, vcc, v32, v2
	v_addc_co_u32_e32 v3, vcc, v35, v3, vcc
	global_store_dwordx2 v[6:7], v[4:5], off
	global_store_dwordx2 v[2:3], v[0:1], off
.LBB0_15:
	s_endpgm
	.section	.rodata,"a",@progbits
	.p2align	6, 0x0
	.amdhsa_kernel bluestein_single_back_len88_dim1_sp_op_CI_CI
		.amdhsa_group_segment_fixed_size 7744
		.amdhsa_private_segment_fixed_size 0
		.amdhsa_kernarg_size 104
		.amdhsa_user_sgpr_count 6
		.amdhsa_user_sgpr_private_segment_buffer 1
		.amdhsa_user_sgpr_dispatch_ptr 0
		.amdhsa_user_sgpr_queue_ptr 0
		.amdhsa_user_sgpr_kernarg_segment_ptr 1
		.amdhsa_user_sgpr_dispatch_id 0
		.amdhsa_user_sgpr_flat_scratch_init 0
		.amdhsa_user_sgpr_private_segment_size 0
		.amdhsa_uses_dynamic_stack 0
		.amdhsa_system_sgpr_private_segment_wavefront_offset 0
		.amdhsa_system_sgpr_workgroup_id_x 1
		.amdhsa_system_sgpr_workgroup_id_y 0
		.amdhsa_system_sgpr_workgroup_id_z 0
		.amdhsa_system_sgpr_workgroup_info 0
		.amdhsa_system_vgpr_workitem_id 0
		.amdhsa_next_free_vgpr 131
		.amdhsa_next_free_sgpr 16
		.amdhsa_reserve_vcc 1
		.amdhsa_reserve_flat_scratch 0
		.amdhsa_float_round_mode_32 0
		.amdhsa_float_round_mode_16_64 0
		.amdhsa_float_denorm_mode_32 3
		.amdhsa_float_denorm_mode_16_64 3
		.amdhsa_dx10_clamp 1
		.amdhsa_ieee_mode 1
		.amdhsa_fp16_overflow 0
		.amdhsa_exception_fp_ieee_invalid_op 0
		.amdhsa_exception_fp_denorm_src 0
		.amdhsa_exception_fp_ieee_div_zero 0
		.amdhsa_exception_fp_ieee_overflow 0
		.amdhsa_exception_fp_ieee_underflow 0
		.amdhsa_exception_fp_ieee_inexact 0
		.amdhsa_exception_int_div_zero 0
	.end_amdhsa_kernel
	.text
.Lfunc_end0:
	.size	bluestein_single_back_len88_dim1_sp_op_CI_CI, .Lfunc_end0-bluestein_single_back_len88_dim1_sp_op_CI_CI
                                        ; -- End function
	.section	.AMDGPU.csdata,"",@progbits
; Kernel info:
; codeLenInByte = 8684
; NumSgprs: 20
; NumVgprs: 131
; ScratchSize: 0
; MemoryBound: 0
; FloatMode: 240
; IeeeMode: 1
; LDSByteSize: 7744 bytes/workgroup (compile time only)
; SGPRBlocks: 2
; VGPRBlocks: 32
; NumSGPRsForWavesPerEU: 20
; NumVGPRsForWavesPerEU: 131
; Occupancy: 1
; WaveLimiterHint : 1
; COMPUTE_PGM_RSRC2:SCRATCH_EN: 0
; COMPUTE_PGM_RSRC2:USER_SGPR: 6
; COMPUTE_PGM_RSRC2:TRAP_HANDLER: 0
; COMPUTE_PGM_RSRC2:TGID_X_EN: 1
; COMPUTE_PGM_RSRC2:TGID_Y_EN: 0
; COMPUTE_PGM_RSRC2:TGID_Z_EN: 0
; COMPUTE_PGM_RSRC2:TIDIG_COMP_CNT: 0
	.type	__hip_cuid_8dcc6fd809bd7e1b,@object ; @__hip_cuid_8dcc6fd809bd7e1b
	.section	.bss,"aw",@nobits
	.globl	__hip_cuid_8dcc6fd809bd7e1b
__hip_cuid_8dcc6fd809bd7e1b:
	.byte	0                               ; 0x0
	.size	__hip_cuid_8dcc6fd809bd7e1b, 1

	.ident	"AMD clang version 19.0.0git (https://github.com/RadeonOpenCompute/llvm-project roc-6.4.0 25133 c7fe45cf4b819c5991fe208aaa96edf142730f1d)"
	.section	".note.GNU-stack","",@progbits
	.addrsig
	.addrsig_sym __hip_cuid_8dcc6fd809bd7e1b
	.amdgpu_metadata
---
amdhsa.kernels:
  - .args:
      - .actual_access:  read_only
        .address_space:  global
        .offset:         0
        .size:           8
        .value_kind:     global_buffer
      - .actual_access:  read_only
        .address_space:  global
        .offset:         8
        .size:           8
        .value_kind:     global_buffer
      - .actual_access:  read_only
        .address_space:  global
        .offset:         16
        .size:           8
        .value_kind:     global_buffer
      - .actual_access:  read_only
        .address_space:  global
        .offset:         24
        .size:           8
        .value_kind:     global_buffer
      - .actual_access:  read_only
        .address_space:  global
        .offset:         32
        .size:           8
        .value_kind:     global_buffer
      - .offset:         40
        .size:           8
        .value_kind:     by_value
      - .address_space:  global
        .offset:         48
        .size:           8
        .value_kind:     global_buffer
      - .address_space:  global
        .offset:         56
        .size:           8
        .value_kind:     global_buffer
      - .address_space:  global
        .offset:         64
        .size:           8
        .value_kind:     global_buffer
      - .address_space:  global
        .offset:         72
        .size:           8
        .value_kind:     global_buffer
      - .offset:         80
        .size:           4
        .value_kind:     by_value
      - .address_space:  global
        .offset:         88
        .size:           8
        .value_kind:     global_buffer
      - .address_space:  global
        .offset:         96
        .size:           8
        .value_kind:     global_buffer
    .group_segment_fixed_size: 7744
    .kernarg_segment_align: 8
    .kernarg_segment_size: 104
    .language:       OpenCL C
    .language_version:
      - 2
      - 0
    .max_flat_workgroup_size: 121
    .name:           bluestein_single_back_len88_dim1_sp_op_CI_CI
    .private_segment_fixed_size: 0
    .sgpr_count:     20
    .sgpr_spill_count: 0
    .symbol:         bluestein_single_back_len88_dim1_sp_op_CI_CI.kd
    .uniform_work_group_size: 1
    .uses_dynamic_stack: false
    .vgpr_count:     131
    .vgpr_spill_count: 0
    .wavefront_size: 64
amdhsa.target:   amdgcn-amd-amdhsa--gfx906
amdhsa.version:
  - 1
  - 2
...

	.end_amdgpu_metadata
